;; amdgpu-corpus repo=ROCm/rocFFT kind=compiled arch=gfx906 opt=O3
	.text
	.amdgcn_target "amdgcn-amd-amdhsa--gfx906"
	.amdhsa_code_object_version 6
	.protected	fft_rtc_fwd_len832_factors_13_2_2_2_2_2_2_wgs_104_tpt_104_halfLds_sp_ip_CI_unitstride_sbrr_C2R_dirReg ; -- Begin function fft_rtc_fwd_len832_factors_13_2_2_2_2_2_2_wgs_104_tpt_104_halfLds_sp_ip_CI_unitstride_sbrr_C2R_dirReg
	.globl	fft_rtc_fwd_len832_factors_13_2_2_2_2_2_2_wgs_104_tpt_104_halfLds_sp_ip_CI_unitstride_sbrr_C2R_dirReg
	.p2align	8
	.type	fft_rtc_fwd_len832_factors_13_2_2_2_2_2_2_wgs_104_tpt_104_halfLds_sp_ip_CI_unitstride_sbrr_C2R_dirReg,@function
fft_rtc_fwd_len832_factors_13_2_2_2_2_2_2_wgs_104_tpt_104_halfLds_sp_ip_CI_unitstride_sbrr_C2R_dirReg: ; @fft_rtc_fwd_len832_factors_13_2_2_2_2_2_2_wgs_104_tpt_104_halfLds_sp_ip_CI_unitstride_sbrr_C2R_dirReg
; %bb.0:
	s_load_dwordx2 s[2:3], s[4:5], 0x50
	s_load_dwordx4 s[8:11], s[4:5], 0x0
	s_load_dwordx2 s[12:13], s[4:5], 0x18
	v_mul_u32_u24_e32 v1, 0x277, v0
	v_add_u32_sdwa v5, s6, v1 dst_sel:DWORD dst_unused:UNUSED_PAD src0_sel:DWORD src1_sel:WORD_1
	v_mov_b32_e32 v3, 0
	s_waitcnt lgkmcnt(0)
	v_cmp_lt_u64_e64 s[0:1], s[10:11], 2
	v_mov_b32_e32 v1, 0
	v_mov_b32_e32 v6, v3
	s_and_b64 vcc, exec, s[0:1]
	v_mov_b32_e32 v2, 0
	s_cbranch_vccnz .LBB0_8
; %bb.1:
	s_load_dwordx2 s[0:1], s[4:5], 0x10
	s_add_u32 s6, s12, 8
	s_addc_u32 s7, s13, 0
	v_mov_b32_e32 v1, 0
	v_mov_b32_e32 v2, 0
	s_waitcnt lgkmcnt(0)
	s_add_u32 s14, s0, 8
	s_addc_u32 s15, s1, 0
	s_mov_b64 s[16:17], 1
.LBB0_2:                                ; =>This Inner Loop Header: Depth=1
	s_load_dwordx2 s[18:19], s[14:15], 0x0
                                        ; implicit-def: $vgpr7_vgpr8
	s_waitcnt lgkmcnt(0)
	v_or_b32_e32 v4, s19, v6
	v_cmp_ne_u64_e32 vcc, 0, v[3:4]
	s_and_saveexec_b64 s[0:1], vcc
	s_xor_b64 s[20:21], exec, s[0:1]
	s_cbranch_execz .LBB0_4
; %bb.3:                                ;   in Loop: Header=BB0_2 Depth=1
	v_cvt_f32_u32_e32 v4, s18
	v_cvt_f32_u32_e32 v7, s19
	s_sub_u32 s0, 0, s18
	s_subb_u32 s1, 0, s19
	v_mac_f32_e32 v4, 0x4f800000, v7
	v_rcp_f32_e32 v4, v4
	v_mul_f32_e32 v4, 0x5f7ffffc, v4
	v_mul_f32_e32 v7, 0x2f800000, v4
	v_trunc_f32_e32 v7, v7
	v_mac_f32_e32 v4, 0xcf800000, v7
	v_cvt_u32_f32_e32 v7, v7
	v_cvt_u32_f32_e32 v4, v4
	v_mul_lo_u32 v8, s0, v7
	v_mul_hi_u32 v9, s0, v4
	v_mul_lo_u32 v11, s1, v4
	v_mul_lo_u32 v10, s0, v4
	v_add_u32_e32 v8, v9, v8
	v_add_u32_e32 v8, v8, v11
	v_mul_hi_u32 v9, v4, v10
	v_mul_lo_u32 v11, v4, v8
	v_mul_hi_u32 v13, v4, v8
	v_mul_hi_u32 v12, v7, v10
	v_mul_lo_u32 v10, v7, v10
	v_mul_hi_u32 v14, v7, v8
	v_add_co_u32_e32 v9, vcc, v9, v11
	v_addc_co_u32_e32 v11, vcc, 0, v13, vcc
	v_mul_lo_u32 v8, v7, v8
	v_add_co_u32_e32 v9, vcc, v9, v10
	v_addc_co_u32_e32 v9, vcc, v11, v12, vcc
	v_addc_co_u32_e32 v10, vcc, 0, v14, vcc
	v_add_co_u32_e32 v8, vcc, v9, v8
	v_addc_co_u32_e32 v9, vcc, 0, v10, vcc
	v_add_co_u32_e32 v4, vcc, v4, v8
	v_addc_co_u32_e32 v7, vcc, v7, v9, vcc
	v_mul_lo_u32 v8, s0, v7
	v_mul_hi_u32 v9, s0, v4
	v_mul_lo_u32 v10, s1, v4
	v_mul_lo_u32 v11, s0, v4
	v_add_u32_e32 v8, v9, v8
	v_add_u32_e32 v8, v8, v10
	v_mul_lo_u32 v12, v4, v8
	v_mul_hi_u32 v13, v4, v11
	v_mul_hi_u32 v14, v4, v8
	;; [unrolled: 1-line block ×3, first 2 shown]
	v_mul_lo_u32 v11, v7, v11
	v_mul_hi_u32 v9, v7, v8
	v_add_co_u32_e32 v12, vcc, v13, v12
	v_addc_co_u32_e32 v13, vcc, 0, v14, vcc
	v_mul_lo_u32 v8, v7, v8
	v_add_co_u32_e32 v11, vcc, v12, v11
	v_addc_co_u32_e32 v10, vcc, v13, v10, vcc
	v_addc_co_u32_e32 v9, vcc, 0, v9, vcc
	v_add_co_u32_e32 v8, vcc, v10, v8
	v_addc_co_u32_e32 v9, vcc, 0, v9, vcc
	v_add_co_u32_e32 v4, vcc, v4, v8
	v_addc_co_u32_e32 v9, vcc, v7, v9, vcc
	v_mad_u64_u32 v[7:8], s[0:1], v5, v9, 0
	v_mul_hi_u32 v10, v5, v4
	v_add_co_u32_e32 v11, vcc, v10, v7
	v_addc_co_u32_e32 v12, vcc, 0, v8, vcc
	v_mad_u64_u32 v[7:8], s[0:1], v6, v4, 0
	v_mad_u64_u32 v[9:10], s[0:1], v6, v9, 0
	v_add_co_u32_e32 v4, vcc, v11, v7
	v_addc_co_u32_e32 v4, vcc, v12, v8, vcc
	v_addc_co_u32_e32 v7, vcc, 0, v10, vcc
	v_add_co_u32_e32 v4, vcc, v4, v9
	v_addc_co_u32_e32 v9, vcc, 0, v7, vcc
	v_mul_lo_u32 v10, s19, v4
	v_mul_lo_u32 v11, s18, v9
	v_mad_u64_u32 v[7:8], s[0:1], s18, v4, 0
	v_add3_u32 v8, v8, v11, v10
	v_sub_u32_e32 v10, v6, v8
	v_mov_b32_e32 v11, s19
	v_sub_co_u32_e32 v7, vcc, v5, v7
	v_subb_co_u32_e64 v10, s[0:1], v10, v11, vcc
	v_subrev_co_u32_e64 v11, s[0:1], s18, v7
	v_subbrev_co_u32_e64 v10, s[0:1], 0, v10, s[0:1]
	v_cmp_le_u32_e64 s[0:1], s19, v10
	v_cndmask_b32_e64 v12, 0, -1, s[0:1]
	v_cmp_le_u32_e64 s[0:1], s18, v11
	v_cndmask_b32_e64 v11, 0, -1, s[0:1]
	v_cmp_eq_u32_e64 s[0:1], s19, v10
	v_cndmask_b32_e64 v10, v12, v11, s[0:1]
	v_add_co_u32_e64 v11, s[0:1], 2, v4
	v_addc_co_u32_e64 v12, s[0:1], 0, v9, s[0:1]
	v_add_co_u32_e64 v13, s[0:1], 1, v4
	v_addc_co_u32_e64 v14, s[0:1], 0, v9, s[0:1]
	v_subb_co_u32_e32 v8, vcc, v6, v8, vcc
	v_cmp_ne_u32_e64 s[0:1], 0, v10
	v_cmp_le_u32_e32 vcc, s19, v8
	v_cndmask_b32_e64 v10, v14, v12, s[0:1]
	v_cndmask_b32_e64 v12, 0, -1, vcc
	v_cmp_le_u32_e32 vcc, s18, v7
	v_cndmask_b32_e64 v7, 0, -1, vcc
	v_cmp_eq_u32_e32 vcc, s19, v8
	v_cndmask_b32_e32 v7, v12, v7, vcc
	v_cmp_ne_u32_e32 vcc, 0, v7
	v_cndmask_b32_e64 v7, v13, v11, s[0:1]
	v_cndmask_b32_e32 v8, v9, v10, vcc
	v_cndmask_b32_e32 v7, v4, v7, vcc
.LBB0_4:                                ;   in Loop: Header=BB0_2 Depth=1
	s_andn2_saveexec_b64 s[0:1], s[20:21]
	s_cbranch_execz .LBB0_6
; %bb.5:                                ;   in Loop: Header=BB0_2 Depth=1
	v_cvt_f32_u32_e32 v4, s18
	s_sub_i32 s20, 0, s18
	v_rcp_iflag_f32_e32 v4, v4
	v_mul_f32_e32 v4, 0x4f7ffffe, v4
	v_cvt_u32_f32_e32 v4, v4
	v_mul_lo_u32 v7, s20, v4
	v_mul_hi_u32 v7, v4, v7
	v_add_u32_e32 v4, v4, v7
	v_mul_hi_u32 v4, v5, v4
	v_mul_lo_u32 v7, v4, s18
	v_add_u32_e32 v8, 1, v4
	v_sub_u32_e32 v7, v5, v7
	v_subrev_u32_e32 v9, s18, v7
	v_cmp_le_u32_e32 vcc, s18, v7
	v_cndmask_b32_e32 v7, v7, v9, vcc
	v_cndmask_b32_e32 v4, v4, v8, vcc
	v_add_u32_e32 v8, 1, v4
	v_cmp_le_u32_e32 vcc, s18, v7
	v_cndmask_b32_e32 v7, v4, v8, vcc
	v_mov_b32_e32 v8, v3
.LBB0_6:                                ;   in Loop: Header=BB0_2 Depth=1
	s_or_b64 exec, exec, s[0:1]
	v_mul_lo_u32 v4, v8, s18
	v_mul_lo_u32 v11, v7, s19
	v_mad_u64_u32 v[9:10], s[0:1], v7, s18, 0
	s_load_dwordx2 s[0:1], s[6:7], 0x0
	s_add_u32 s16, s16, 1
	v_add3_u32 v4, v10, v11, v4
	v_sub_co_u32_e32 v5, vcc, v5, v9
	v_subb_co_u32_e32 v4, vcc, v6, v4, vcc
	s_waitcnt lgkmcnt(0)
	v_mul_lo_u32 v4, s0, v4
	v_mul_lo_u32 v6, s1, v5
	v_mad_u64_u32 v[1:2], s[0:1], s0, v5, v[1:2]
	s_addc_u32 s17, s17, 0
	s_add_u32 s6, s6, 8
	v_add3_u32 v2, v6, v2, v4
	v_mov_b32_e32 v4, s10
	v_mov_b32_e32 v5, s11
	s_addc_u32 s7, s7, 0
	v_cmp_ge_u64_e32 vcc, s[16:17], v[4:5]
	s_add_u32 s14, s14, 8
	s_addc_u32 s15, s15, 0
	s_cbranch_vccnz .LBB0_9
; %bb.7:                                ;   in Loop: Header=BB0_2 Depth=1
	v_mov_b32_e32 v5, v7
	v_mov_b32_e32 v6, v8
	s_branch .LBB0_2
.LBB0_8:
	v_mov_b32_e32 v8, v6
	v_mov_b32_e32 v7, v5
.LBB0_9:
	s_lshl_b64 s[0:1], s[10:11], 3
	s_add_u32 s0, s12, s0
	s_addc_u32 s1, s13, s1
	s_load_dwordx2 s[6:7], s[0:1], 0x0
	s_load_dwordx2 s[10:11], s[4:5], 0x20
	s_waitcnt lgkmcnt(0)
	v_mad_u64_u32 v[3:4], s[0:1], s6, v7, v[1:2]
	s_mov_b32 s0, 0x2762763
	v_mul_lo_u32 v5, s6, v8
	v_mul_lo_u32 v6, s7, v7
	v_mul_hi_u32 v1, v0, s0
	v_cmp_gt_u64_e64 s[0:1], s[10:11], v[7:8]
	v_mov_b32_e32 v2, 0
	v_add3_u32 v4, v6, v4, v5
	v_mul_u32_u24_e32 v1, 0x68, v1
	v_sub_u32_e32 v1, v0, v1
	v_lshlrev_b64 v[24:25], 3, v[3:4]
	v_mov_b32_e32 v26, v1
	s_and_saveexec_b64 s[4:5], s[0:1]
	s_cbranch_execz .LBB0_13
; %bb.10:
	v_mov_b32_e32 v0, s3
	v_add_co_u32_e32 v4, vcc, s2, v24
	v_lshlrev_b64 v[5:6], 3, v[1:2]
	v_addc_co_u32_e32 v0, vcc, v0, v25, vcc
	v_add_co_u32_e32 v5, vcc, v4, v5
	v_addc_co_u32_e32 v6, vcc, v0, v6, vcc
	v_add_co_u32_e32 v15, vcc, 0x1000, v5
	global_load_dwordx2 v[7:8], v[5:6], off
	global_load_dwordx2 v[9:10], v[5:6], off offset:832
	global_load_dwordx2 v[11:12], v[5:6], off offset:1664
	;; [unrolled: 1-line block ×3, first 2 shown]
	v_addc_co_u32_e32 v16, vcc, 0, v6, vcc
	global_load_dwordx2 v[17:18], v[5:6], off offset:3328
	global_load_dwordx2 v[19:20], v[15:16], off offset:64
	;; [unrolled: 1-line block ×4, first 2 shown]
	v_lshl_add_u32 v3, v1, 3, 0
	s_movk_i32 s6, 0x67
	v_add_u32_e32 v5, 0x400, v3
	v_add_u32_e32 v6, 0xc00, v3
	;; [unrolled: 1-line block ×3, first 2 shown]
	v_cmp_eq_u32_e32 vcc, s6, v1
	s_waitcnt vmcnt(6)
	ds_write2_b64 v3, v[7:8], v[9:10] offset1:104
	s_waitcnt vmcnt(4)
	ds_write2_b64 v5, v[11:12], v[13:14] offset0:80 offset1:184
	s_waitcnt vmcnt(2)
	ds_write2_b64 v6, v[17:18], v[19:20] offset0:32 offset1:136
	s_waitcnt vmcnt(0)
	ds_write2_b64 v15, v[21:22], v[26:27] offset0:112 offset1:216
	v_mov_b32_e32 v3, v2
	v_mov_b32_e32 v2, v1
	s_and_saveexec_b64 s[6:7], vcc
	s_cbranch_execz .LBB0_12
; %bb.11:
	v_add_co_u32_e32 v1, vcc, 0x1000, v4
	v_addc_co_u32_e32 v2, vcc, 0, v0, vcc
	global_load_dwordx2 v[0:1], v[1:2], off offset:2560
	v_mov_b32_e32 v4, 0
	v_mov_b32_e32 v2, 0x67
	;; [unrolled: 1-line block ×3, first 2 shown]
	s_waitcnt vmcnt(0)
	ds_write_b64 v4, v[0:1] offset:6656
	v_mov_b32_e32 v1, 0x67
.LBB0_12:
	s_or_b64 exec, exec, s[6:7]
	v_mov_b32_e32 v26, v1
	v_mov_b32_e32 v1, v2
	;; [unrolled: 1-line block ×3, first 2 shown]
.LBB0_13:
	s_or_b64 exec, exec, s[4:5]
	v_lshlrev_b32_e32 v0, 3, v26
	v_add_u32_e32 v34, 0, v0
	s_waitcnt lgkmcnt(0)
	s_barrier
	v_sub_u32_e32 v3, 0, v0
	ds_read_b32 v4, v34
	ds_read_b32 v5, v3 offset:6656
	s_add_u32 s6, s8, 0x1998
	v_lshlrev_b64 v[30:31], 3, v[1:2]
	s_addc_u32 s7, s9, 0
	v_cmp_ne_u32_e32 vcc, 0, v26
	s_waitcnt lgkmcnt(0)
	v_add_f32_e32 v0, v5, v4
	v_sub_f32_e32 v1, v4, v5
	s_and_saveexec_b64 s[4:5], vcc
	s_xor_b64 s[4:5], exec, s[4:5]
	s_cbranch_execz .LBB0_15
; %bb.14:
	v_mov_b32_e32 v1, s7
	v_add_co_u32_e32 v0, vcc, s6, v30
	v_addc_co_u32_e32 v1, vcc, v1, v31, vcc
	global_load_dwordx2 v[6:7], v[0:1], off
	ds_read_b32 v0, v3 offset:6660
	ds_read_b32 v1, v34 offset:4
	v_add_f32_e32 v2, v5, v4
	v_sub_f32_e32 v8, v4, v5
	s_waitcnt lgkmcnt(0)
	v_add_f32_e32 v9, v0, v1
	v_sub_f32_e32 v0, v1, v0
	s_waitcnt vmcnt(0)
	v_fma_f32 v4, -v8, v7, v2
	v_fma_f32 v5, v9, v7, -v0
	v_fma_f32 v10, v8, v7, v2
	v_fma_f32 v1, v9, v7, v0
	v_fmac_f32_e32 v4, v6, v9
	v_fmac_f32_e32 v5, v8, v6
	v_fma_f32 v0, -v6, v9, v10
	v_fmac_f32_e32 v1, v8, v6
	ds_write_b64 v3, v[4:5] offset:6656
.LBB0_15:
	s_andn2_saveexec_b64 s[4:5], s[4:5]
	s_cbranch_execz .LBB0_17
; %bb.16:
	v_mov_b32_e32 v2, 0
	ds_read_b64 v[4:5], v2 offset:3328
	s_waitcnt lgkmcnt(0)
	v_add_f32_e32 v4, v4, v4
	v_mul_f32_e32 v5, -2.0, v5
	ds_write_b64 v2, v[4:5] offset:3328
.LBB0_17:
	s_or_b64 exec, exec, s[4:5]
	v_mov_b32_e32 v27, 0
	v_lshlrev_b64 v[28:29], 3, v[26:27]
	v_mov_b32_e32 v2, s7
	v_add_co_u32_e32 v4, vcc, s6, v28
	v_addc_co_u32_e32 v5, vcc, v2, v29, vcc
	global_load_dwordx2 v[6:7], v[4:5], off offset:832
	global_load_dwordx2 v[8:9], v[4:5], off offset:1664
	;; [unrolled: 1-line block ×3, first 2 shown]
	ds_write_b64 v34, v[0:1]
	ds_read_b64 v[0:1], v34 offset:832
	ds_read_b64 v[4:5], v3 offset:5824
	v_cmp_gt_u32_e32 vcc, 64, v26
	s_waitcnt lgkmcnt(0)
	v_add_f32_e32 v2, v0, v4
	v_add_f32_e32 v12, v5, v1
	v_sub_f32_e32 v13, v0, v4
	v_sub_f32_e32 v0, v1, v5
	s_waitcnt vmcnt(2)
	v_fma_f32 v14, v13, v7, v2
	v_fma_f32 v1, v12, v7, v0
	v_fma_f32 v4, -v13, v7, v2
	v_fma_f32 v5, v12, v7, -v0
	v_fma_f32 v0, -v6, v12, v14
	v_fmac_f32_e32 v1, v13, v6
	v_fmac_f32_e32 v4, v6, v12
	;; [unrolled: 1-line block ×3, first 2 shown]
	ds_write_b64 v34, v[0:1] offset:832
	ds_write_b64 v3, v[4:5] offset:5824
	ds_read_b64 v[0:1], v34 offset:1664
	ds_read_b64 v[4:5], v3 offset:4992
	s_waitcnt lgkmcnt(0)
	v_add_f32_e32 v2, v0, v4
	v_add_f32_e32 v6, v5, v1
	v_sub_f32_e32 v7, v0, v4
	v_sub_f32_e32 v0, v1, v5
	s_waitcnt vmcnt(1)
	v_fma_f32 v12, v7, v9, v2
	v_fma_f32 v1, v6, v9, v0
	v_fma_f32 v4, -v7, v9, v2
	v_fma_f32 v5, v6, v9, -v0
	v_fma_f32 v0, -v8, v6, v12
	v_fmac_f32_e32 v1, v7, v8
	v_fmac_f32_e32 v4, v8, v6
	;; [unrolled: 1-line block ×3, first 2 shown]
	ds_write_b64 v34, v[0:1] offset:1664
	ds_write_b64 v3, v[4:5] offset:4992
	ds_read_b64 v[0:1], v34 offset:2496
	ds_read_b64 v[4:5], v3 offset:4160
	s_waitcnt lgkmcnt(0)
	v_add_f32_e32 v2, v0, v4
	v_add_f32_e32 v6, v5, v1
	v_sub_f32_e32 v7, v0, v4
	v_sub_f32_e32 v0, v1, v5
	s_waitcnt vmcnt(0)
	v_fma_f32 v8, v7, v11, v2
	v_fma_f32 v1, v6, v11, v0
	v_fma_f32 v4, -v7, v11, v2
	v_fma_f32 v5, v6, v11, -v0
	v_fma_f32 v0, -v10, v6, v8
	v_fmac_f32_e32 v1, v7, v10
	v_fmac_f32_e32 v4, v10, v6
	;; [unrolled: 1-line block ×3, first 2 shown]
	ds_write_b64 v34, v[0:1] offset:2496
	ds_write_b64 v3, v[4:5] offset:4160
	s_waitcnt lgkmcnt(0)
	s_barrier
	s_barrier
	ds_read2st64_b64 v[0:3], v34 offset1:1
	ds_read2st64_b64 v[8:11], v34 offset0:2 offset1:3
	ds_read2st64_b64 v[16:19], v34 offset0:4 offset1:5
	ds_read2st64_b64 v[4:7], v34 offset0:6 offset1:7
	ds_read_b64 v[32:33], v34 offset:6144
	ds_read2st64_b64 v[20:23], v34 offset0:8 offset1:9
	ds_read2st64_b64 v[12:15], v34 offset0:10 offset1:11
	s_waitcnt lgkmcnt(0)
	s_barrier
	s_and_saveexec_b64 s[4:5], vcc
	s_cbranch_execz .LBB0_19
; %bb.18:
	v_add_f32_e32 v36, v1, v3
	v_add_f32_e32 v36, v36, v9
	;; [unrolled: 1-line block ×9, first 2 shown]
	v_sub_f32_e32 v42, v17, v23
	v_add_f32_e32 v17, v39, v5
	v_add_f32_e32 v36, v36, v16
	;; [unrolled: 1-line block ×6, first 2 shown]
	v_sub_f32_e32 v43, v19, v21
	v_add_f32_e32 v21, v17, v23
	v_add_f32_e32 v17, v40, v4
	;; [unrolled: 1-line block ×4, first 2 shown]
	v_sub_f32_e32 v35, v16, v22
	v_sub_f32_e32 v41, v18, v20
	v_add_f32_e32 v36, v22, v16
	v_add_f32_e32 v16, v20, v18
	;; [unrolled: 1-line block ×5, first 2 shown]
	v_sub_f32_e32 v39, v9, v15
	v_sub_f32_e32 v40, v11, v13
	v_add_f32_e32 v9, v21, v13
	v_sub_f32_e32 v11, v2, v32
	v_sub_f32_e32 v22, v8, v14
	;; [unrolled: 1-line block ×3, first 2 shown]
	v_add_f32_e32 v17, v14, v8
	v_add_f32_e32 v8, v12, v10
	;; [unrolled: 1-line block ×4, first 2 shown]
	v_mul_f32_e32 v12, 0xbe750f2a, v11
	v_mul_f32_e32 v15, 0xbf29c268, v11
	v_mul_f32_e32 v21, 0xbf6f5d39, v11
	v_mul_f32_e32 v45, 0xbf7e222b, v11
	v_mul_f32_e32 v47, 0xbf52af12, v11
	v_mul_f32_e32 v11, 0xbeedf032, v11
	v_add_f32_e32 v10, v10, v14
	s_mov_b32 s6, 0xbf788fa5
	v_add_f32_e32 v13, v33, v3
	v_mov_b32_e32 v14, v12
	s_mov_b32 s13, 0x3f62ad3f
	s_mov_b32 s7, 0xbf3f9e67
	;; [unrolled: 1-line block ×5, first 2 shown]
	v_mov_b32_e32 v20, v15
	v_mov_b32_e32 v44, v21
	;; [unrolled: 1-line block ×5, first 2 shown]
	v_sub_f32_e32 v3, v3, v33
	v_fmac_f32_e32 v14, 0xbf788fa5, v13
	v_fmac_f32_e32 v20, 0xbf3f9e67, v13
	;; [unrolled: 1-line block ×6, first 2 shown]
	v_fma_f32 v12, v13, s6, -v12
	v_fma_f32 v15, v13, s7, -v15
	;; [unrolled: 1-line block ×6, first 2 shown]
	v_mul_f32_e32 v13, 0xbe750f2a, v3
	v_mul_f32_e32 v50, 0xbf29c268, v3
	v_mul_f32_e32 v51, 0xbf6f5d39, v3
	v_mul_f32_e32 v52, 0xbf7e222b, v3
	v_mul_f32_e32 v53, 0xbf52af12, v3
	v_mul_f32_e32 v3, 0xbeedf032, v3
	v_add_f32_e32 v2, v32, v2
	v_fma_f32 v54, v2, s6, -v13
	v_fmac_f32_e32 v13, 0xbf788fa5, v2
	v_fma_f32 v55, v2, s7, -v50
	v_fmac_f32_e32 v50, 0xbf3f9e67, v2
	v_fma_f32 v56, v2, s10, -v51
	v_fmac_f32_e32 v51, 0xbeb58ec6, v2
	v_fma_f32 v57, v2, s12, -v52
	v_fmac_f32_e32 v52, 0x3df6dbef, v2
	v_fma_f32 v58, v2, s11, -v53
	v_fmac_f32_e32 v53, 0x3f116cb1, v2
	v_fma_f32 v59, v2, s13, -v3
	v_fmac_f32_e32 v3, 0x3f62ad3f, v2
	v_add_f32_e32 v2, v1, v14
	v_add_f32_e32 v14, v0, v54
	;; [unrolled: 1-line block ×14, first 2 shown]
	v_mul_f32_e32 v32, 0x3eedf032, v22
	v_mov_b32_e32 v3, v32
	v_add_f32_e32 v20, v1, v20
	v_add_f32_e32 v44, v1, v44
	;; [unrolled: 1-line block ×12, first 2 shown]
	v_fmac_f32_e32 v3, 0x3f62ad3f, v18
	v_mul_f32_e32 v33, 0xbf29c268, v23
	v_add_f32_e32 v2, v3, v2
	v_mov_b32_e32 v3, v33
	v_fmac_f32_e32 v3, 0xbf3f9e67, v19
	v_mul_f32_e32 v66, 0x3f52af12, v35
	v_add_f32_e32 v2, v3, v2
	v_mov_b32_e32 v3, v66
	;; [unrolled: 4-line block ×3, first 2 shown]
	v_fmac_f32_e32 v3, 0xbeb58ec6, v38
	v_mul_f32_e32 v68, 0x3eedf032, v39
	v_add_f32_e32 v2, v3, v2
	v_fma_f32 v3, v17, s13, -v68
	v_mul_f32_e32 v69, 0xbf29c268, v40
	v_sub_f32_e32 v13, v4, v6
	v_add_f32_e32 v65, v6, v4
	v_add_f32_e32 v3, v3, v14
	v_fma_f32 v4, v8, s7, -v69
	v_mul_f32_e32 v70, 0x3f52af12, v42
	v_add_f32_e32 v3, v4, v3
	v_fma_f32 v4, v36, s11, -v70
	v_mul_f32_e32 v71, 0xbf6f5d39, v43
	;; [unrolled: 3-line block ×3, first 2 shown]
	v_add_f32_e32 v64, v7, v5
	v_sub_f32_e32 v21, v5, v7
	v_add_f32_e32 v4, v4, v3
	v_mov_b32_e32 v3, v72
	v_fmac_f32_e32 v3, 0x3df6dbef, v64
	v_mul_f32_e32 v73, 0x3f7e222b, v21
	v_add_f32_e32 v3, v3, v2
	v_fma_f32 v2, v65, s12, -v73
	v_mul_f32_e32 v74, 0x3f7e222b, v22
	v_add_f32_e32 v2, v2, v4
	v_mov_b32_e32 v4, v74
	v_mul_f32_e32 v75, 0xbf52af12, v23
	v_fmac_f32_e32 v4, 0x3df6dbef, v18
	v_mov_b32_e32 v5, v75
	v_add_f32_e32 v4, v4, v20
	v_fmac_f32_e32 v5, 0x3f116cb1, v19
	v_mul_f32_e32 v76, 0x3e750f2a, v35
	v_add_f32_e32 v4, v5, v4
	v_mov_b32_e32 v5, v76
	v_fmac_f32_e32 v5, 0xbf788fa5, v37
	v_mul_f32_e32 v77, 0x3eedf032, v41
	v_add_f32_e32 v4, v5, v4
	v_mov_b32_e32 v5, v77
	v_fmac_f32_e32 v5, 0x3f62ad3f, v38
	v_mul_f32_e32 v78, 0x3f7e222b, v39
	v_add_f32_e32 v4, v5, v4
	v_fma_f32 v5, v17, s12, -v78
	v_add_f32_e32 v5, v5, v54
	v_mul_f32_e32 v54, 0xbf52af12, v40
	v_fma_f32 v6, v8, s11, -v54
	v_mul_f32_e32 v79, 0x3e750f2a, v42
	v_add_f32_e32 v5, v6, v5
	v_fma_f32 v6, v36, s6, -v79
	v_mul_f32_e32 v80, 0x3eedf032, v43
	v_add_f32_e32 v5, v6, v5
	v_fma_f32 v6, v16, s13, -v80
	v_mul_f32_e32 v81, 0xbf6f5d39, v13
	v_add_f32_e32 v6, v6, v5
	v_mov_b32_e32 v5, v81
	v_fmac_f32_e32 v5, 0xbeb58ec6, v64
	v_mul_f32_e32 v82, 0xbf6f5d39, v21
	v_add_f32_e32 v5, v5, v4
	v_fma_f32 v4, v65, s10, -v82
	v_mul_f32_e32 v83, 0x3f29c268, v22
	v_add_f32_e32 v4, v4, v6
	v_mov_b32_e32 v6, v83
	v_fmac_f32_e32 v6, 0xbf3f9e67, v18
	v_add_f32_e32 v6, v6, v44
	v_mul_f32_e32 v44, 0x3eedf032, v23
	v_mov_b32_e32 v7, v44
	v_fmac_f32_e32 v7, 0x3f62ad3f, v19
	v_mul_f32_e32 v84, 0xbf7e222b, v35
	v_add_f32_e32 v6, v7, v6
	v_mov_b32_e32 v7, v84
	v_fmac_f32_e32 v7, 0x3df6dbef, v37
	v_mul_f32_e32 v85, 0x3e750f2a, v41
	v_add_f32_e32 v6, v7, v6
	v_mov_b32_e32 v7, v85
	v_fmac_f32_e32 v7, 0xbf788fa5, v38
	v_mul_f32_e32 v86, 0x3f29c268, v39
	v_add_f32_e32 v6, v7, v6
	v_fma_f32 v7, v17, s7, -v86
	v_add_f32_e32 v7, v7, v55
	v_mul_f32_e32 v55, 0x3eedf032, v40
	v_fma_f32 v9, v8, s13, -v55
	v_mul_f32_e32 v87, 0xbf7e222b, v42
	v_add_f32_e32 v7, v9, v7
	v_fma_f32 v9, v36, s12, -v87
	v_mul_f32_e32 v88, 0x3e750f2a, v43
	v_add_f32_e32 v7, v9, v7
	v_fma_f32 v9, v16, s6, -v88
	v_mul_f32_e32 v89, 0x3f52af12, v13
	v_add_f32_e32 v9, v9, v7
	v_mov_b32_e32 v7, v89
	v_fmac_f32_e32 v7, 0x3f116cb1, v64
	v_mul_f32_e32 v90, 0x3f52af12, v21
	v_add_f32_e32 v7, v7, v6
	v_fma_f32 v6, v65, s11, -v90
	v_mul_f32_e32 v91, 0xbe750f2a, v22
	v_add_f32_e32 v6, v6, v9
	v_mov_b32_e32 v9, v91
	v_fmac_f32_e32 v9, 0xbf788fa5, v18
	v_add_f32_e32 v9, v9, v46
	v_mul_f32_e32 v46, 0x3f6f5d39, v23
	v_mov_b32_e32 v10, v46
	;; [unrolled: 35-line block ×4, first 2 shown]
	v_fmac_f32_e32 v20, 0x3df6dbef, v19
	v_mul_f32_e32 v35, 0xbf6f5d39, v35
	v_add_f32_e32 v14, v20, v14
	v_mov_b32_e32 v20, v35
	v_fmac_f32_e32 v20, 0xbeb58ec6, v37
	v_mul_f32_e32 v108, 0xbf29c268, v41
	v_add_f32_e32 v14, v20, v14
	v_mov_b32_e32 v20, v108
	v_fmac_f32_e32 v20, 0xbf3f9e67, v38
	v_mul_f32_e32 v109, 0xbf52af12, v39
	v_add_f32_e32 v14, v20, v14
	v_fma_f32 v20, v17, s11, -v109
	v_add_f32_e32 v20, v20, v58
	v_mul_f32_e32 v58, 0xbf7e222b, v40
	v_fma_f32 v22, v8, s12, -v58
	v_mul_f32_e32 v110, 0xbf6f5d39, v42
	v_mul_f32_e32 v111, 0xbe750f2a, v13
	v_add_f32_e32 v20, v22, v20
	v_fma_f32 v22, v36, s10, -v110
	v_mul_f32_e32 v43, 0xbf29c268, v43
	v_mov_b32_e32 v13, v111
	v_add_f32_e32 v20, v22, v20
	v_fma_f32 v22, v16, s7, -v43
	v_fmac_f32_e32 v13, 0xbf788fa5, v64
	v_mul_f32_e32 v112, 0xbe750f2a, v21
	v_add_f32_e32 v20, v22, v20
	v_add_f32_e32 v14, v13, v14
	v_fma_f32 v13, v65, s6, -v112
	v_add_f32_e32 v13, v13, v20
	v_fma_f32 v20, v18, s13, -v32
	;; [unrolled: 2-line block ×5, first 2 shown]
	v_fmac_f32_e32 v68, 0x3f62ad3f, v17
	v_add_f32_e32 v20, v21, v20
	v_add_f32_e32 v21, v68, v60
	v_fmac_f32_e32 v69, 0xbf3f9e67, v8
	v_add_f32_e32 v21, v69, v21
	v_fmac_f32_e32 v70, 0x3f116cb1, v36
	;; [unrolled: 2-line block ×3, first 2 shown]
	v_add_f32_e32 v22, v71, v21
	v_fma_f32 v21, v64, s12, -v72
	v_fmac_f32_e32 v73, 0x3df6dbef, v65
	v_add_f32_e32 v21, v21, v20
	v_add_f32_e32 v20, v73, v22
	v_fma_f32 v22, v18, s12, -v74
	v_add_f32_e32 v15, v22, v15
	v_fma_f32 v22, v19, s11, -v75
	;; [unrolled: 2-line block ×21, first 2 shown]
	v_fmac_f32_e32 v109, 0x3f116cb1, v17
	v_fmac_f32_e32 v78, 0x3df6dbef, v17
	;; [unrolled: 1-line block ×5, first 2 shown]
	v_add_f32_e32 v15, v15, v62
	v_fma_f32 v18, v19, s12, -v49
	v_add_f32_e32 v17, v109, v63
	v_fmac_f32_e32 v58, 0x3df6dbef, v8
	v_add_f32_e32 v22, v78, v50
	v_fmac_f32_e32 v54, 0x3f116cb1, v8
	v_add_f32_e32 v32, v86, v51
	v_fmac_f32_e32 v55, 0x3f62ad3f, v8
	v_add_f32_e32 v39, v94, v52
	v_fmac_f32_e32 v56, 0xbeb58ec6, v8
	v_add_f32_e32 v41, v102, v53
	v_fmac_f32_e32 v57, 0xbf788fa5, v8
	v_add_f32_e32 v15, v18, v15
	v_fma_f32 v18, v37, s10, -v35
	v_add_f32_e32 v8, v58, v17
	v_fmac_f32_e32 v110, 0xbeb58ec6, v36
	v_add_f32_e32 v22, v54, v22
	v_fmac_f32_e32 v79, 0xbf788fa5, v36
	v_add_f32_e32 v32, v55, v32
	v_fmac_f32_e32 v87, 0x3df6dbef, v36
	v_add_f32_e32 v39, v56, v39
	v_fmac_f32_e32 v95, 0x3f62ad3f, v36
	v_add_f32_e32 v41, v57, v41
	v_fmac_f32_e32 v103, 0xbf3f9e67, v36
	;; [unrolled: 12-line block ×3, first 2 shown]
	v_add_f32_e32 v15, v18, v15
	v_fma_f32 v18, v64, s6, -v111
	v_add_f32_e32 v8, v43, v8
	v_fmac_f32_e32 v112, 0xbf788fa5, v65
	s_movk_i32 s6, 0x60
	v_add_f32_e32 v22, v80, v22
	v_fmac_f32_e32 v82, 0xbeb58ec6, v65
	v_add_f32_e32 v32, v88, v32
	v_fmac_f32_e32 v90, 0x3f116cb1, v65
	v_add_f32_e32 v39, v96, v39
	v_fmac_f32_e32 v98, 0xbf3f9e67, v65
	v_add_f32_e32 v41, v104, v41
	v_fmac_f32_e32 v106, 0x3f62ad3f, v65
	v_add_f32_e32 v16, v18, v15
	v_add_f32_e32 v15, v112, v8
	v_mad_u32_u24 v8, v26, s6, v34
	v_add_f32_e32 v22, v82, v22
	v_add_f32_e32 v32, v90, v32
	;; [unrolled: 1-line block ×4, first 2 shown]
	ds_write2_b64 v8, v[0:1], v[13:14] offset1:1
	ds_write2_b64 v8, v[11:12], v[9:10] offset0:2 offset1:3
	ds_write2_b64 v8, v[6:7], v[4:5] offset0:4 offset1:5
	;; [unrolled: 1-line block ×5, first 2 shown]
	ds_write_b64 v8, v[15:16] offset:96
.LBB0_19:
	s_or_b64 exec, exec, s[4:5]
	s_movk_i32 s4, 0x4f
	v_mul_lo_u16_sdwa v23, v26, s4 dst_sel:DWORD dst_unused:UNUSED_PAD src0_sel:BYTE_0 src1_sel:DWORD
	v_lshrrev_b16_e32 v39, 10, v23
	v_add_u16_e32 v43, 0x68, v26
	v_mul_lo_u16_e32 v0, 13, v39
	v_mul_lo_u16_sdwa v41, v43, s4 dst_sel:DWORD dst_unused:UNUSED_PAD src0_sel:BYTE_0 src1_sel:DWORD
	v_add_u32_e32 v3, 0xd0, v26
	v_sub_u16_e32 v0, v26, v0
	v_mov_b32_e32 v42, 3
	v_lshrrev_b16_e32 v44, 10, v41
	s_movk_i32 s4, 0x4ec5
	v_lshlrev_b32_sdwa v40, v42, v0 dst_sel:DWORD dst_unused:UNUSED_PAD src0_sel:DWORD src1_sel:BYTE_0
	v_mul_lo_u16_e32 v0, 13, v44
	v_mul_u32_u24_sdwa v46, v3, s4 dst_sel:DWORD dst_unused:UNUSED_PAD src0_sel:WORD_0 src1_sel:DWORD
	v_add_u32_e32 v4, 0x138, v26
	v_sub_u16_e32 v0, v43, v0
	v_lshrrev_b32_e32 v47, 18, v46
	v_lshlrev_b32_sdwa v45, v42, v0 dst_sel:DWORD dst_unused:UNUSED_PAD src0_sel:DWORD src1_sel:BYTE_0
	v_mul_lo_u16_e32 v0, 13, v47
	v_mul_u32_u24_sdwa v49, v4, s4 dst_sel:DWORD dst_unused:UNUSED_PAD src0_sel:WORD_0 src1_sel:DWORD
	v_sub_u16_e32 v0, v3, v0
	v_lshrrev_b32_e32 v50, 18, v49
	v_lshlrev_b32_e32 v48, 3, v0
	v_mul_lo_u16_e32 v0, 13, v50
	v_sub_u16_e32 v0, v4, v0
	s_waitcnt lgkmcnt(0)
	s_barrier
	global_load_dwordx2 v[21:22], v40, s[8:9]
	global_load_dwordx2 v[32:33], v45, s[8:9]
	;; [unrolled: 1-line block ×3, first 2 shown]
	v_lshlrev_b32_e32 v51, 3, v0
	global_load_dwordx2 v[37:38], v51, s[8:9]
	v_add_u32_e32 v2, 0xc00, v34
	ds_read2_b64 v[5:8], v34 offset1:104
	v_add_u32_e32 v0, 0x400, v34
	v_add_u32_e32 v1, 0x1000, v34
	ds_read2_b64 v[9:12], v2 offset0:32 offset1:136
	ds_read2_b64 v[13:16], v0 offset0:80 offset1:184
	ds_read2_b64 v[17:20], v1 offset0:112 offset1:216
	v_mul_u32_u24_e32 v39, 0xd0, v39
	v_mul_u32_u24_e32 v44, 0xd0, v44
	;; [unrolled: 1-line block ×4, first 2 shown]
	v_add3_u32 v39, 0, v39, v40
	v_add3_u32 v40, 0, v44, v45
	;; [unrolled: 1-line block ×4, first 2 shown]
	v_lshrrev_b16_e32 v23, 11, v23
	s_waitcnt vmcnt(0) lgkmcnt(0)
	s_barrier
	v_cmp_gt_u32_e32 vcc, 52, v26
	s_movk_i32 s4, 0x1000
	v_mul_f32_e32 v47, v22, v10
	v_mul_f32_e32 v22, v22, v9
	;; [unrolled: 1-line block ×8, first 2 shown]
	v_fma_f32 v9, v21, v9, -v47
	v_fmac_f32_e32 v22, v21, v10
	v_fma_f32 v11, v32, v11, -v48
	v_fmac_f32_e32 v33, v32, v12
	;; [unrolled: 2-line block ×4, first 2 shown]
	v_sub_f32_e32 v9, v5, v9
	v_sub_f32_e32 v10, v6, v22
	;; [unrolled: 1-line block ×8, first 2 shown]
	v_fma_f32 v5, v5, 2.0, -v9
	v_fma_f32 v6, v6, 2.0, -v10
	;; [unrolled: 1-line block ×8, first 2 shown]
	ds_write2_b64 v39, v[5:6], v[9:10] offset1:13
	ds_write2_b64 v40, v[7:8], v[11:12] offset1:13
	;; [unrolled: 1-line block ×4, first 2 shown]
	v_mul_lo_u16_e32 v5, 26, v23
	v_sub_u16_e32 v5, v26, v5
	v_lshrrev_b16_e32 v8, 11, v41
	v_lshlrev_b32_sdwa v7, v42, v5 dst_sel:DWORD dst_unused:UNUSED_PAD src0_sel:DWORD src1_sel:BYTE_0
	v_mul_lo_u16_e32 v5, 26, v8
	v_sub_u16_e32 v5, v43, v5
	v_lshrrev_b32_e32 v10, 19, v46
	v_lshlrev_b32_sdwa v9, v42, v5 dst_sel:DWORD dst_unused:UNUSED_PAD src0_sel:DWORD src1_sel:BYTE_0
	v_mul_lo_u16_e32 v5, 26, v10
	v_sub_u16_e32 v5, v3, v5
	v_lshrrev_b32_e32 v12, 19, v49
	v_lshlrev_b32_e32 v11, 3, v5
	v_mul_lo_u16_e32 v5, 26, v12
	v_sub_u16_e32 v5, v4, v5
	s_waitcnt lgkmcnt(0)
	s_barrier
	global_load_dwordx2 v[21:22], v7, s[8:9] offset:104
	global_load_dwordx2 v[32:33], v9, s[8:9] offset:104
	;; [unrolled: 1-line block ×3, first 2 shown]
	v_lshlrev_b32_e32 v13, 3, v5
	global_load_dwordx2 v[37:38], v13, s[8:9] offset:104
	v_subrev_u32_e32 v5, 52, v26
	v_mov_b32_e32 v40, v27
	v_cndmask_b32_e32 v39, v5, v26, vcc
	v_lshlrev_b64 v[5:6], 3, v[39:40]
	v_mov_b32_e32 v27, s9
	v_mul_u32_u24_e32 v14, 0x1a0, v23
	v_mul_u32_u24_e32 v8, 0x1a0, v8
	;; [unrolled: 1-line block ×4, first 2 shown]
	v_add_co_u32_e32 v40, vcc, s8, v5
	v_lshrrev_b16_e32 v44, 12, v41
	v_addc_co_u32_e32 v41, vcc, v27, v6, vcc
	v_add3_u32 v23, 0, v14, v7
	v_add3_u32 v45, 0, v8, v9
	;; [unrolled: 1-line block ×4, first 2 shown]
	ds_read2_b64 v[5:8], v34 offset1:104
	ds_read2_b64 v[9:12], v2 offset0:32 offset1:136
	ds_read2_b64 v[13:16], v0 offset0:80 offset1:184
	;; [unrolled: 1-line block ×3, first 2 shown]
	s_waitcnt vmcnt(0) lgkmcnt(0)
	s_barrier
	v_cmp_lt_u32_e32 vcc, 51, v26
	v_mul_f32_e32 v50, v22, v10
	v_mul_f32_e32 v22, v22, v9
	;; [unrolled: 1-line block ×8, first 2 shown]
	v_fma_f32 v9, v21, v9, -v50
	v_fmac_f32_e32 v22, v21, v10
	v_fmac_f32_e32 v33, v32, v12
	v_fma_f32 v11, v32, v11, -v51
	v_fma_f32 v17, v35, v17, -v52
	v_fmac_f32_e32 v36, v35, v18
	v_fma_f32 v19, v37, v19, -v53
	v_fmac_f32_e32 v38, v37, v20
	v_sub_f32_e32 v9, v5, v9
	v_sub_f32_e32 v10, v6, v22
	;; [unrolled: 1-line block ×8, first 2 shown]
	v_fma_f32 v5, v5, 2.0, -v9
	v_fma_f32 v6, v6, 2.0, -v10
	;; [unrolled: 1-line block ×8, first 2 shown]
	ds_write2_b64 v23, v[5:6], v[9:10] offset1:26
	ds_write2_b64 v45, v[7:8], v[11:12] offset1:26
	;; [unrolled: 1-line block ×4, first 2 shown]
	v_lshrrev_b32_e32 v6, 20, v46
	v_lshrrev_b32_e32 v8, 20, v49
	v_mul_lo_u16_e32 v5, 52, v44
	v_mul_lo_u16_e32 v7, 52, v6
	v_mul_lo_u16_e32 v9, 52, v8
	v_sub_u16_e32 v5, v43, v5
	v_sub_u16_e32 v7, v3, v7
	v_sub_u16_e32 v9, v4, v9
	s_waitcnt lgkmcnt(0)
	s_barrier
	v_lshlrev_b32_sdwa v5, v42, v5 dst_sel:DWORD dst_unused:UNUSED_PAD src0_sel:DWORD src1_sel:BYTE_0
	v_lshlrev_b32_e32 v7, 3, v7
	global_load_dwordx2 v[21:22], v[40:41], off offset:312
	v_lshlrev_b32_e32 v9, 3, v9
	global_load_dwordx2 v[37:38], v9, s[8:9] offset:312
	global_load_dwordx2 v[32:33], v5, s[8:9] offset:312
	;; [unrolled: 1-line block ×3, first 2 shown]
	v_mov_b32_e32 v10, 0x340
	v_cndmask_b32_e32 v10, 0, v10, vcc
	v_lshlrev_b32_e32 v11, 3, v39
	v_lshrrev_b32_e32 v12, 21, v46
	v_lshrrev_b32_e32 v13, 21, v49
	v_add3_u32 v23, 0, v10, v11
	v_mul_u32_u24_e32 v10, 0x340, v44
	v_mul_u32_u24_e32 v6, 0x340, v6
	;; [unrolled: 1-line block ×3, first 2 shown]
	v_mul_lo_u16_e32 v39, 0x68, v12
	v_mul_lo_u16_e32 v40, 0x68, v13
	v_add3_u32 v41, 0, v10, v5
	v_add3_u32 v42, 0, v6, v7
	;; [unrolled: 1-line block ×3, first 2 shown]
	ds_read2_b64 v[5:8], v34 offset1:104
	ds_read2_b64 v[9:12], v2 offset0:32 offset1:136
	ds_read2_b64 v[13:16], v0 offset0:80 offset1:184
	ds_read2_b64 v[17:20], v1 offset0:112 offset1:216
	v_add_co_u32_e32 v30, vcc, s8, v30
	v_addc_co_u32_e32 v31, vcc, v27, v31, vcc
	v_sub_u16_e32 v3, v3, v39
	v_sub_u16_e32 v4, v4, v40
	s_waitcnt vmcnt(0) lgkmcnt(0)
	s_barrier
	v_lshlrev_b32_e32 v3, 3, v3
	v_lshlrev_b32_e32 v4, 3, v4
	v_mul_f32_e32 v44, v22, v10
	v_mul_f32_e32 v22, v22, v9
	;; [unrolled: 1-line block ×8, first 2 shown]
	v_fma_f32 v9, v21, v9, -v44
	v_fmac_f32_e32 v22, v21, v10
	v_fma_f32 v11, v32, v11, -v45
	v_fmac_f32_e32 v33, v32, v12
	v_fma_f32 v17, v35, v17, -v46
	v_fmac_f32_e32 v36, v35, v18
	v_fma_f32 v19, v37, v19, -v47
	v_fmac_f32_e32 v38, v37, v20
	v_sub_f32_e32 v9, v5, v9
	v_sub_f32_e32 v10, v6, v22
	;; [unrolled: 1-line block ×8, first 2 shown]
	v_fma_f32 v5, v5, 2.0, -v9
	v_fma_f32 v6, v6, 2.0, -v10
	;; [unrolled: 1-line block ×8, first 2 shown]
	ds_write2_b64 v23, v[5:6], v[9:10] offset1:52
	ds_write2_b64 v41, v[7:8], v[11:12] offset1:52
	;; [unrolled: 1-line block ×4, first 2 shown]
	s_waitcnt lgkmcnt(0)
	s_barrier
	global_load_dwordx2 v[19:20], v[30:31], off offset:728
	global_load_dwordx2 v[32:33], v4, s[8:9] offset:728
	global_load_dwordx2 v[21:22], v3, s[8:9] offset:728
	v_add_u32_e32 v3, 0, v3
	v_add_u32_e32 v4, 0, v4
	;; [unrolled: 1-line block ×4, first 2 shown]
	ds_read2_b64 v[3:6], v34 offset1:104
	ds_read2_b64 v[7:10], v2 offset0:32 offset1:136
	ds_read2_b64 v[11:14], v0 offset0:80 offset1:184
	;; [unrolled: 1-line block ×3, first 2 shown]
	s_waitcnt vmcnt(0) lgkmcnt(0)
	s_barrier
	v_mul_f32_e32 v36, v20, v8
	v_mul_f32_e32 v37, v20, v7
	;; [unrolled: 1-line block ×8, first 2 shown]
	v_fma_f32 v7, v19, v7, -v36
	v_fmac_f32_e32 v37, v19, v8
	v_fma_f32 v9, v19, v9, -v38
	v_fmac_f32_e32 v20, v19, v10
	;; [unrolled: 2-line block ×4, first 2 shown]
	v_sub_f32_e32 v7, v3, v7
	v_sub_f32_e32 v8, v4, v37
	;; [unrolled: 1-line block ×8, first 2 shown]
	v_fma_f32 v3, v3, 2.0, -v7
	v_fma_f32 v4, v4, 2.0, -v8
	v_add_co_u32_e32 v21, vcc, s8, v28
	v_fma_f32 v5, v5, 2.0, -v9
	v_fma_f32 v6, v6, 2.0, -v10
	;; [unrolled: 1-line block ×6, first 2 shown]
	ds_write2_b64 v34, v[3:4], v[7:8] offset1:104
	ds_write2_b64 v0, v[5:6], v[9:10] offset0:80 offset1:184
	ds_write2_b64 v23, v[11:12], v[15:16] offset0:32 offset1:136
	;; [unrolled: 1-line block ×3, first 2 shown]
	s_waitcnt lgkmcnt(0)
	s_barrier
	global_load_dwordx2 v[19:20], v[30:31], off offset:1560
	v_addc_co_u32_e32 v22, vcc, v27, v29, vcc
	global_load_dwordx2 v[27:28], v[21:22], off offset:2392
	ds_read2_b64 v[3:6], v34 offset1:104
	ds_read2_b64 v[7:10], v2 offset0:32 offset1:136
	ds_read2_b64 v[11:14], v0 offset0:80 offset1:184
	;; [unrolled: 1-line block ×3, first 2 shown]
	s_waitcnt vmcnt(0) lgkmcnt(0)
	s_barrier
	v_mul_f32_e32 v23, v20, v8
	v_mul_f32_e32 v29, v20, v7
	;; [unrolled: 1-line block ×8, first 2 shown]
	v_fma_f32 v7, v19, v7, -v23
	v_fmac_f32_e32 v29, v19, v8
	v_fma_f32 v9, v27, v9, -v32
	v_fmac_f32_e32 v33, v27, v10
	;; [unrolled: 2-line block ×4, first 2 shown]
	v_sub_f32_e32 v7, v3, v7
	v_sub_f32_e32 v8, v4, v29
	;; [unrolled: 1-line block ×8, first 2 shown]
	v_fma_f32 v3, v3, 2.0, -v7
	v_fma_f32 v4, v4, 2.0, -v8
	;; [unrolled: 1-line block ×8, first 2 shown]
	ds_write2_b64 v0, v[7:8], v[9:10] offset0:80 offset1:184
	ds_write2_b64 v1, v[15:16], v[17:18] offset0:112 offset1:216
	ds_write2_b64 v34, v[3:4], v[5:6] offset1:104
	ds_write2_b64 v2, v[11:12], v[13:14] offset0:32 offset1:136
	v_add_co_u32_e32 v3, vcc, s4, v21
	v_addc_co_u32_e32 v4, vcc, 0, v22, vcc
	s_waitcnt lgkmcnt(0)
	s_barrier
	global_load_dwordx2 v[19:20], v[30:31], off offset:3224
	global_load_dwordx2 v[27:28], v[21:22], off offset:4056
	s_nop 0
	global_load_dwordx2 v[21:22], v[3:4], off offset:792
	global_load_dwordx2 v[29:30], v[3:4], off offset:1624
	ds_read2_b64 v[3:6], v34 offset1:104
	ds_read2_b64 v[7:10], v2 offset0:32 offset1:136
	ds_read2_b64 v[11:14], v0 offset0:80 offset1:184
	;; [unrolled: 1-line block ×3, first 2 shown]
	s_waitcnt vmcnt(0) lgkmcnt(0)
	s_barrier
	v_mul_f32_e32 v23, v20, v8
	v_mul_f32_e32 v20, v20, v7
	v_mul_f32_e32 v31, v28, v10
	v_mul_f32_e32 v28, v28, v9
	v_mul_f32_e32 v32, v22, v16
	v_mul_f32_e32 v22, v22, v15
	v_mul_f32_e32 v33, v30, v18
	v_mul_f32_e32 v30, v30, v17
	v_fma_f32 v7, v19, v7, -v23
	v_fmac_f32_e32 v20, v19, v8
	v_fma_f32 v9, v27, v9, -v31
	v_fmac_f32_e32 v28, v27, v10
	;; [unrolled: 2-line block ×4, first 2 shown]
	v_sub_f32_e32 v7, v3, v7
	v_sub_f32_e32 v8, v4, v20
	;; [unrolled: 1-line block ×8, first 2 shown]
	v_fma_f32 v3, v3, 2.0, -v7
	v_fma_f32 v4, v4, 2.0, -v8
	;; [unrolled: 1-line block ×8, first 2 shown]
	ds_write2_b64 v2, v[7:8], v[9:10] offset0:32 offset1:136
	ds_write2_b64 v1, v[15:16], v[17:18] offset0:112 offset1:216
	ds_write2_b64 v34, v[3:4], v[5:6] offset1:104
	ds_write2_b64 v0, v[11:12], v[13:14] offset0:80 offset1:184
	s_waitcnt lgkmcnt(0)
	s_barrier
	s_and_saveexec_b64 s[4:5], s[0:1]
	s_cbranch_execz .LBB0_21
; %bb.20:
	v_lshl_add_u32 v6, v26, 3, 0
	v_mov_b32_e32 v27, 0
	ds_read2_b64 v[0:3], v6 offset1:104
	v_mov_b32_e32 v4, s3
	v_add_co_u32_e32 v7, vcc, s2, v24
	v_addc_co_u32_e32 v8, vcc, v4, v25, vcc
	v_lshlrev_b64 v[4:5], 3, v[26:27]
	v_add_co_u32_e32 v4, vcc, v7, v4
	v_addc_co_u32_e32 v5, vcc, v8, v5, vcc
	s_waitcnt lgkmcnt(0)
	global_store_dwordx2 v[4:5], v[0:1], off
	v_add_u32_e32 v0, 0x68, v26
	v_mov_b32_e32 v1, v27
	v_lshlrev_b64 v[0:1], 3, v[0:1]
	v_add_u32_e32 v4, 0xd0, v26
	v_add_co_u32_e32 v0, vcc, v7, v0
	v_addc_co_u32_e32 v1, vcc, v8, v1, vcc
	global_store_dwordx2 v[0:1], v[2:3], off
	v_add_u32_e32 v0, 0x400, v6
	v_mov_b32_e32 v5, v27
	ds_read2_b64 v[0:3], v0 offset0:80 offset1:184
	v_lshlrev_b64 v[4:5], 3, v[4:5]
	v_add_co_u32_e32 v4, vcc, v7, v4
	v_addc_co_u32_e32 v5, vcc, v8, v5, vcc
	s_waitcnt lgkmcnt(0)
	global_store_dwordx2 v[4:5], v[0:1], off
	v_add_u32_e32 v0, 0x138, v26
	v_mov_b32_e32 v1, v27
	v_lshlrev_b64 v[0:1], 3, v[0:1]
	v_add_u32_e32 v4, 0x1a0, v26
	v_add_co_u32_e32 v0, vcc, v7, v0
	v_addc_co_u32_e32 v1, vcc, v8, v1, vcc
	global_store_dwordx2 v[0:1], v[2:3], off
	v_add_u32_e32 v0, 0xc00, v6
	v_mov_b32_e32 v5, v27
	ds_read2_b64 v[0:3], v0 offset0:32 offset1:136
	;; [unrolled: 15-line block ×3, first 2 shown]
	v_lshlrev_b64 v[4:5], 3, v[4:5]
	v_add_u32_e32 v26, 0x2d8, v26
	v_add_co_u32_e32 v4, vcc, v7, v4
	v_addc_co_u32_e32 v5, vcc, v8, v5, vcc
	s_waitcnt lgkmcnt(0)
	global_store_dwordx2 v[4:5], v[0:1], off
	v_lshlrev_b64 v[0:1], 3, v[26:27]
	v_add_co_u32_e32 v0, vcc, v7, v0
	v_addc_co_u32_e32 v1, vcc, v8, v1, vcc
	global_store_dwordx2 v[0:1], v[2:3], off
.LBB0_21:
	s_endpgm
	.section	.rodata,"a",@progbits
	.p2align	6, 0x0
	.amdhsa_kernel fft_rtc_fwd_len832_factors_13_2_2_2_2_2_2_wgs_104_tpt_104_halfLds_sp_ip_CI_unitstride_sbrr_C2R_dirReg
		.amdhsa_group_segment_fixed_size 0
		.amdhsa_private_segment_fixed_size 0
		.amdhsa_kernarg_size 88
		.amdhsa_user_sgpr_count 6
		.amdhsa_user_sgpr_private_segment_buffer 1
		.amdhsa_user_sgpr_dispatch_ptr 0
		.amdhsa_user_sgpr_queue_ptr 0
		.amdhsa_user_sgpr_kernarg_segment_ptr 1
		.amdhsa_user_sgpr_dispatch_id 0
		.amdhsa_user_sgpr_flat_scratch_init 0
		.amdhsa_user_sgpr_private_segment_size 0
		.amdhsa_uses_dynamic_stack 0
		.amdhsa_system_sgpr_private_segment_wavefront_offset 0
		.amdhsa_system_sgpr_workgroup_id_x 1
		.amdhsa_system_sgpr_workgroup_id_y 0
		.amdhsa_system_sgpr_workgroup_id_z 0
		.amdhsa_system_sgpr_workgroup_info 0
		.amdhsa_system_vgpr_workitem_id 0
		.amdhsa_next_free_vgpr 113
		.amdhsa_next_free_sgpr 22
		.amdhsa_reserve_vcc 1
		.amdhsa_reserve_flat_scratch 0
		.amdhsa_float_round_mode_32 0
		.amdhsa_float_round_mode_16_64 0
		.amdhsa_float_denorm_mode_32 3
		.amdhsa_float_denorm_mode_16_64 3
		.amdhsa_dx10_clamp 1
		.amdhsa_ieee_mode 1
		.amdhsa_fp16_overflow 0
		.amdhsa_exception_fp_ieee_invalid_op 0
		.amdhsa_exception_fp_denorm_src 0
		.amdhsa_exception_fp_ieee_div_zero 0
		.amdhsa_exception_fp_ieee_overflow 0
		.amdhsa_exception_fp_ieee_underflow 0
		.amdhsa_exception_fp_ieee_inexact 0
		.amdhsa_exception_int_div_zero 0
	.end_amdhsa_kernel
	.text
.Lfunc_end0:
	.size	fft_rtc_fwd_len832_factors_13_2_2_2_2_2_2_wgs_104_tpt_104_halfLds_sp_ip_CI_unitstride_sbrr_C2R_dirReg, .Lfunc_end0-fft_rtc_fwd_len832_factors_13_2_2_2_2_2_2_wgs_104_tpt_104_halfLds_sp_ip_CI_unitstride_sbrr_C2R_dirReg
                                        ; -- End function
	.section	.AMDGPU.csdata,"",@progbits
; Kernel info:
; codeLenInByte = 7612
; NumSgprs: 26
; NumVgprs: 113
; ScratchSize: 0
; MemoryBound: 0
; FloatMode: 240
; IeeeMode: 1
; LDSByteSize: 0 bytes/workgroup (compile time only)
; SGPRBlocks: 3
; VGPRBlocks: 28
; NumSGPRsForWavesPerEU: 26
; NumVGPRsForWavesPerEU: 113
; Occupancy: 2
; WaveLimiterHint : 1
; COMPUTE_PGM_RSRC2:SCRATCH_EN: 0
; COMPUTE_PGM_RSRC2:USER_SGPR: 6
; COMPUTE_PGM_RSRC2:TRAP_HANDLER: 0
; COMPUTE_PGM_RSRC2:TGID_X_EN: 1
; COMPUTE_PGM_RSRC2:TGID_Y_EN: 0
; COMPUTE_PGM_RSRC2:TGID_Z_EN: 0
; COMPUTE_PGM_RSRC2:TIDIG_COMP_CNT: 0
	.type	__hip_cuid_6c0c5e002bd6c877,@object ; @__hip_cuid_6c0c5e002bd6c877
	.section	.bss,"aw",@nobits
	.globl	__hip_cuid_6c0c5e002bd6c877
__hip_cuid_6c0c5e002bd6c877:
	.byte	0                               ; 0x0
	.size	__hip_cuid_6c0c5e002bd6c877, 1

	.ident	"AMD clang version 19.0.0git (https://github.com/RadeonOpenCompute/llvm-project roc-6.4.0 25133 c7fe45cf4b819c5991fe208aaa96edf142730f1d)"
	.section	".note.GNU-stack","",@progbits
	.addrsig
	.addrsig_sym __hip_cuid_6c0c5e002bd6c877
	.amdgpu_metadata
---
amdhsa.kernels:
  - .args:
      - .actual_access:  read_only
        .address_space:  global
        .offset:         0
        .size:           8
        .value_kind:     global_buffer
      - .offset:         8
        .size:           8
        .value_kind:     by_value
      - .actual_access:  read_only
        .address_space:  global
        .offset:         16
        .size:           8
        .value_kind:     global_buffer
      - .actual_access:  read_only
        .address_space:  global
        .offset:         24
        .size:           8
        .value_kind:     global_buffer
      - .offset:         32
        .size:           8
        .value_kind:     by_value
      - .actual_access:  read_only
        .address_space:  global
        .offset:         40
        .size:           8
        .value_kind:     global_buffer
      - .actual_access:  read_only
        .address_space:  global
        .offset:         48
        .size:           8
        .value_kind:     global_buffer
      - .offset:         56
        .size:           4
        .value_kind:     by_value
      - .actual_access:  read_only
        .address_space:  global
        .offset:         64
        .size:           8
        .value_kind:     global_buffer
      - .actual_access:  read_only
        .address_space:  global
        .offset:         72
        .size:           8
        .value_kind:     global_buffer
      - .address_space:  global
        .offset:         80
        .size:           8
        .value_kind:     global_buffer
    .group_segment_fixed_size: 0
    .kernarg_segment_align: 8
    .kernarg_segment_size: 88
    .language:       OpenCL C
    .language_version:
      - 2
      - 0
    .max_flat_workgroup_size: 104
    .name:           fft_rtc_fwd_len832_factors_13_2_2_2_2_2_2_wgs_104_tpt_104_halfLds_sp_ip_CI_unitstride_sbrr_C2R_dirReg
    .private_segment_fixed_size: 0
    .sgpr_count:     26
    .sgpr_spill_count: 0
    .symbol:         fft_rtc_fwd_len832_factors_13_2_2_2_2_2_2_wgs_104_tpt_104_halfLds_sp_ip_CI_unitstride_sbrr_C2R_dirReg.kd
    .uniform_work_group_size: 1
    .uses_dynamic_stack: false
    .vgpr_count:     113
    .vgpr_spill_count: 0
    .wavefront_size: 64
amdhsa.target:   amdgcn-amd-amdhsa--gfx906
amdhsa.version:
  - 1
  - 2
...

	.end_amdgpu_metadata
